;; amdgpu-corpus repo=ROCm/rocFFT kind=compiled arch=gfx906 opt=O3
	.text
	.amdgcn_target "amdgcn-amd-amdhsa--gfx906"
	.amdhsa_code_object_version 6
	.protected	fft_rtc_back_len26_factors_13_2_wgs_64_tpt_2_halfLds_half_op_CI_CI_sbrr_dirReg ; -- Begin function fft_rtc_back_len26_factors_13_2_wgs_64_tpt_2_halfLds_half_op_CI_CI_sbrr_dirReg
	.globl	fft_rtc_back_len26_factors_13_2_wgs_64_tpt_2_halfLds_half_op_CI_CI_sbrr_dirReg
	.p2align	8
	.type	fft_rtc_back_len26_factors_13_2_wgs_64_tpt_2_halfLds_half_op_CI_CI_sbrr_dirReg,@function
fft_rtc_back_len26_factors_13_2_wgs_64_tpt_2_halfLds_half_op_CI_CI_sbrr_dirReg: ; @fft_rtc_back_len26_factors_13_2_wgs_64_tpt_2_halfLds_half_op_CI_CI_sbrr_dirReg
; %bb.0:
	s_load_dwordx4 s[16:19], s[4:5], 0x18
	s_load_dwordx4 s[8:11], s[4:5], 0x0
	;; [unrolled: 1-line block ×3, first 2 shown]
	v_lshrrev_b32_e32 v10, 1, v0
	v_mov_b32_e32 v3, 0
	s_waitcnt lgkmcnt(0)
	s_load_dwordx2 s[20:21], s[16:17], 0x0
	s_load_dwordx2 s[2:3], s[18:19], 0x0
	v_cmp_lt_u64_e64 s[0:1], s[10:11], 2
	v_mov_b32_e32 v13, 0
	v_lshl_or_b32 v7, s6, 5, v10
	v_mov_b32_e32 v8, v3
	s_and_b64 vcc, exec, s[0:1]
	v_mov_b32_e32 v14, 0
	s_cbranch_vccnz .LBB0_8
; %bb.1:
	s_load_dwordx2 s[0:1], s[4:5], 0x10
	s_add_u32 s6, s18, 8
	s_addc_u32 s7, s19, 0
	s_add_u32 s22, s16, 8
	s_addc_u32 s23, s17, 0
	v_mov_b32_e32 v13, 0
	s_waitcnt lgkmcnt(0)
	s_add_u32 s24, s0, 8
	v_mov_b32_e32 v14, 0
	v_mov_b32_e32 v1, v13
	s_addc_u32 s25, s1, 0
	s_mov_b64 s[26:27], 1
	v_mov_b32_e32 v2, v14
.LBB0_2:                                ; =>This Inner Loop Header: Depth=1
	s_load_dwordx2 s[28:29], s[24:25], 0x0
                                        ; implicit-def: $vgpr5_vgpr6
	s_waitcnt lgkmcnt(0)
	v_or_b32_e32 v4, s29, v8
	v_cmp_ne_u64_e32 vcc, 0, v[3:4]
	s_and_saveexec_b64 s[0:1], vcc
	s_xor_b64 s[30:31], exec, s[0:1]
	s_cbranch_execz .LBB0_4
; %bb.3:                                ;   in Loop: Header=BB0_2 Depth=1
	v_cvt_f32_u32_e32 v4, s28
	v_cvt_f32_u32_e32 v5, s29
	s_sub_u32 s0, 0, s28
	s_subb_u32 s1, 0, s29
	v_mac_f32_e32 v4, 0x4f800000, v5
	v_rcp_f32_e32 v4, v4
	v_mul_f32_e32 v4, 0x5f7ffffc, v4
	v_mul_f32_e32 v5, 0x2f800000, v4
	v_trunc_f32_e32 v5, v5
	v_mac_f32_e32 v4, 0xcf800000, v5
	v_cvt_u32_f32_e32 v5, v5
	v_cvt_u32_f32_e32 v4, v4
	v_mul_lo_u32 v6, s0, v5
	v_mul_hi_u32 v9, s0, v4
	v_mul_lo_u32 v12, s1, v4
	v_mul_lo_u32 v11, s0, v4
	v_add_u32_e32 v6, v9, v6
	v_add_u32_e32 v6, v6, v12
	v_mul_hi_u32 v9, v4, v11
	v_mul_lo_u32 v12, v4, v6
	v_mul_hi_u32 v16, v4, v6
	v_mul_hi_u32 v15, v5, v11
	v_mul_lo_u32 v11, v5, v11
	v_mul_hi_u32 v17, v5, v6
	v_add_co_u32_e32 v9, vcc, v9, v12
	v_addc_co_u32_e32 v12, vcc, 0, v16, vcc
	v_mul_lo_u32 v6, v5, v6
	v_add_co_u32_e32 v9, vcc, v9, v11
	v_addc_co_u32_e32 v9, vcc, v12, v15, vcc
	v_addc_co_u32_e32 v11, vcc, 0, v17, vcc
	v_add_co_u32_e32 v6, vcc, v9, v6
	v_addc_co_u32_e32 v9, vcc, 0, v11, vcc
	v_add_co_u32_e32 v4, vcc, v4, v6
	v_addc_co_u32_e32 v5, vcc, v5, v9, vcc
	v_mul_lo_u32 v6, s0, v5
	v_mul_hi_u32 v9, s0, v4
	v_mul_lo_u32 v11, s1, v4
	v_mul_lo_u32 v12, s0, v4
	v_add_u32_e32 v6, v9, v6
	v_add_u32_e32 v6, v6, v11
	v_mul_lo_u32 v15, v4, v6
	v_mul_hi_u32 v16, v4, v12
	v_mul_hi_u32 v17, v4, v6
	;; [unrolled: 1-line block ×3, first 2 shown]
	v_mul_lo_u32 v12, v5, v12
	v_mul_hi_u32 v9, v5, v6
	v_add_co_u32_e32 v15, vcc, v16, v15
	v_addc_co_u32_e32 v16, vcc, 0, v17, vcc
	v_mul_lo_u32 v6, v5, v6
	v_add_co_u32_e32 v12, vcc, v15, v12
	v_addc_co_u32_e32 v11, vcc, v16, v11, vcc
	v_addc_co_u32_e32 v9, vcc, 0, v9, vcc
	v_add_co_u32_e32 v6, vcc, v11, v6
	v_addc_co_u32_e32 v9, vcc, 0, v9, vcc
	v_add_co_u32_e32 v6, vcc, v4, v6
	v_addc_co_u32_e32 v9, vcc, v5, v9, vcc
	v_mad_u64_u32 v[4:5], s[0:1], v7, v9, 0
	v_mul_hi_u32 v11, v7, v6
	v_add_co_u32_e32 v15, vcc, v11, v4
	v_addc_co_u32_e32 v16, vcc, 0, v5, vcc
	v_mad_u64_u32 v[4:5], s[0:1], v8, v6, 0
	v_mad_u64_u32 v[11:12], s[0:1], v8, v9, 0
	v_add_co_u32_e32 v4, vcc, v15, v4
	v_addc_co_u32_e32 v4, vcc, v16, v5, vcc
	v_addc_co_u32_e32 v5, vcc, 0, v12, vcc
	v_add_co_u32_e32 v9, vcc, v4, v11
	v_addc_co_u32_e32 v6, vcc, 0, v5, vcc
	v_mul_lo_u32 v11, s29, v9
	v_mul_lo_u32 v12, s28, v6
	v_mad_u64_u32 v[4:5], s[0:1], s28, v9, 0
	v_add3_u32 v5, v5, v12, v11
	v_sub_u32_e32 v11, v8, v5
	v_mov_b32_e32 v12, s29
	v_sub_co_u32_e32 v4, vcc, v7, v4
	v_subb_co_u32_e64 v11, s[0:1], v11, v12, vcc
	v_subrev_co_u32_e64 v12, s[0:1], s28, v4
	v_subbrev_co_u32_e64 v11, s[0:1], 0, v11, s[0:1]
	v_cmp_le_u32_e64 s[0:1], s29, v11
	v_cndmask_b32_e64 v15, 0, -1, s[0:1]
	v_cmp_le_u32_e64 s[0:1], s28, v12
	v_cndmask_b32_e64 v12, 0, -1, s[0:1]
	v_cmp_eq_u32_e64 s[0:1], s29, v11
	v_cndmask_b32_e64 v11, v15, v12, s[0:1]
	v_add_co_u32_e64 v12, s[0:1], 2, v9
	v_addc_co_u32_e64 v15, s[0:1], 0, v6, s[0:1]
	v_add_co_u32_e64 v16, s[0:1], 1, v9
	v_addc_co_u32_e64 v17, s[0:1], 0, v6, s[0:1]
	v_subb_co_u32_e32 v5, vcc, v8, v5, vcc
	v_cmp_ne_u32_e64 s[0:1], 0, v11
	v_cmp_le_u32_e32 vcc, s29, v5
	v_cndmask_b32_e64 v11, v17, v15, s[0:1]
	v_cndmask_b32_e64 v15, 0, -1, vcc
	v_cmp_le_u32_e32 vcc, s28, v4
	v_cndmask_b32_e64 v4, 0, -1, vcc
	v_cmp_eq_u32_e32 vcc, s29, v5
	v_cndmask_b32_e32 v4, v15, v4, vcc
	v_cmp_ne_u32_e32 vcc, 0, v4
	v_cndmask_b32_e64 v4, v16, v12, s[0:1]
	v_cndmask_b32_e32 v6, v6, v11, vcc
	v_cndmask_b32_e32 v5, v9, v4, vcc
.LBB0_4:                                ;   in Loop: Header=BB0_2 Depth=1
	s_andn2_saveexec_b64 s[0:1], s[30:31]
	s_cbranch_execz .LBB0_6
; %bb.5:                                ;   in Loop: Header=BB0_2 Depth=1
	v_cvt_f32_u32_e32 v4, s28
	s_sub_i32 s30, 0, s28
	v_rcp_iflag_f32_e32 v4, v4
	v_mul_f32_e32 v4, 0x4f7ffffe, v4
	v_cvt_u32_f32_e32 v4, v4
	v_mul_lo_u32 v5, s30, v4
	v_mul_hi_u32 v5, v4, v5
	v_add_u32_e32 v4, v4, v5
	v_mul_hi_u32 v4, v7, v4
	v_mul_lo_u32 v5, v4, s28
	v_add_u32_e32 v6, 1, v4
	v_sub_u32_e32 v5, v7, v5
	v_subrev_u32_e32 v9, s28, v5
	v_cmp_le_u32_e32 vcc, s28, v5
	v_cndmask_b32_e32 v5, v5, v9, vcc
	v_cndmask_b32_e32 v4, v4, v6, vcc
	v_add_u32_e32 v6, 1, v4
	v_cmp_le_u32_e32 vcc, s28, v5
	v_cndmask_b32_e32 v5, v4, v6, vcc
	v_mov_b32_e32 v6, v3
.LBB0_6:                                ;   in Loop: Header=BB0_2 Depth=1
	s_or_b64 exec, exec, s[0:1]
	v_mul_lo_u32 v4, v6, s28
	v_mul_lo_u32 v9, v5, s29
	v_mad_u64_u32 v[11:12], s[0:1], v5, s28, 0
	s_load_dwordx2 s[0:1], s[22:23], 0x0
	s_load_dwordx2 s[28:29], s[6:7], 0x0
	v_add3_u32 v4, v12, v9, v4
	v_sub_co_u32_e32 v7, vcc, v7, v11
	v_subb_co_u32_e32 v4, vcc, v8, v4, vcc
	s_waitcnt lgkmcnt(0)
	v_mul_lo_u32 v8, s0, v4
	v_mul_lo_u32 v9, s1, v7
	v_mad_u64_u32 v[13:14], s[0:1], s0, v7, v[13:14]
	s_add_u32 s26, s26, 1
	s_addc_u32 s27, s27, 0
	s_add_u32 s6, s6, 8
	v_mul_lo_u32 v4, s28, v4
	v_mul_lo_u32 v11, s29, v7
	v_mad_u64_u32 v[1:2], s[0:1], s28, v7, v[1:2]
	v_add3_u32 v14, v9, v14, v8
	s_addc_u32 s7, s7, 0
	v_mov_b32_e32 v7, s10
	s_add_u32 s22, s22, 8
	v_mov_b32_e32 v8, s11
	s_addc_u32 s23, s23, 0
	v_cmp_ge_u64_e32 vcc, s[26:27], v[7:8]
	s_add_u32 s24, s24, 8
	v_add3_u32 v2, v11, v2, v4
	s_addc_u32 s25, s25, 0
	s_cbranch_vccnz .LBB0_9
; %bb.7:                                ;   in Loop: Header=BB0_2 Depth=1
	v_mov_b32_e32 v8, v6
	v_mov_b32_e32 v7, v5
	s_branch .LBB0_2
.LBB0_8:
	v_mov_b32_e32 v1, v13
	v_mov_b32_e32 v5, v7
	;; [unrolled: 1-line block ×4, first 2 shown]
.LBB0_9:
	s_load_dwordx2 s[0:1], s[4:5], 0x28
	s_lshl_b64 s[10:11], s[10:11], 3
	s_add_u32 s4, s18, s10
	s_addc_u32 s5, s19, s11
	v_and_b32_e32 v3, 1, v0
	s_waitcnt lgkmcnt(0)
	v_cmp_gt_u64_e32 vcc, s[0:1], v[5:6]
	v_cmp_le_u64_e64 s[0:1], s[0:1], v[5:6]
                                        ; implicit-def: $sgpr18
                                        ; implicit-def: $vgpr7
                                        ; implicit-def: $vgpr8
                                        ; implicit-def: $vgpr11
                                        ; implicit-def: $vgpr12
                                        ; implicit-def: $vgpr9
	s_and_saveexec_b64 s[6:7], s[0:1]
	s_xor_b64 s[0:1], exec, s[6:7]
; %bb.10:
	v_and_b32_e32 v3, 1, v0
	v_or_b32_e32 v7, 2, v3
	v_or_b32_e32 v8, 4, v3
	;; [unrolled: 1-line block ×5, first 2 shown]
	s_mov_b32 s18, 0
                                        ; implicit-def: $vgpr13_vgpr14
; %bb.11:
	s_or_saveexec_b64 s[6:7], s[0:1]
	v_mov_b32_e32 v4, s18
                                        ; implicit-def: $vgpr27
                                        ; implicit-def: $vgpr15
                                        ; implicit-def: $vgpr28
                                        ; implicit-def: $vgpr17
                                        ; implicit-def: $vgpr29
                                        ; implicit-def: $vgpr18
                                        ; implicit-def: $vgpr31
                                        ; implicit-def: $vgpr19
                                        ; implicit-def: $vgpr32
                                        ; implicit-def: $vgpr20
                                        ; implicit-def: $vgpr33
                                        ; implicit-def: $vgpr21
                                        ; implicit-def: $vgpr35
                                        ; implicit-def: $vgpr22
                                        ; implicit-def: $vgpr36
                                        ; implicit-def: $vgpr23
                                        ; implicit-def: $vgpr38
                                        ; implicit-def: $vgpr26
                                        ; implicit-def: $vgpr39
                                        ; implicit-def: $vgpr30
                                        ; implicit-def: $vgpr41
                                        ; implicit-def: $vgpr34
                                        ; implicit-def: $vgpr43
                                        ; implicit-def: $vgpr37
	s_xor_b64 exec, exec, s[6:7]
	s_cbranch_execz .LBB0_13
; %bb.12:
	s_add_u32 s0, s16, s10
	s_addc_u32 s1, s17, s11
	s_load_dwordx2 s[0:1], s[0:1], 0x0
	v_mov_b32_e32 v9, s13
	v_mul_lo_u32 v12, s21, v3
	v_mul_lo_u32 v11, s20, v3
	s_waitcnt lgkmcnt(0)
	v_mul_lo_u32 v0, s1, v5
	v_mul_lo_u32 v4, s0, v6
	v_mad_u64_u32 v[7:8], s[0:1], s0, v5, 0
	v_lshlrev_b64 v[11:12], 2, v[11:12]
	v_add3_u32 v8, v8, v4, v0
	v_lshlrev_b64 v[7:8], 2, v[7:8]
	v_add_co_u32_e64 v0, s[0:1], s12, v7
	v_or_b32_e32 v7, 2, v3
	v_addc_co_u32_e64 v4, s[0:1], v9, v8, s[0:1]
	v_lshlrev_b64 v[8:9], 2, v[13:14]
	v_mad_u64_u32 v[13:14], s[0:1], s20, v7, 0
	v_add_co_u32_e64 v23, s[0:1], v0, v8
	v_mov_b32_e32 v0, v14
	v_addc_co_u32_e64 v4, s[0:1], v4, v9, s[0:1]
	v_mad_u64_u32 v[14:15], s[0:1], s21, v7, v[0:1]
	v_or_b32_e32 v8, 4, v3
	v_mad_u64_u32 v[15:16], s[0:1], s20, v8, 0
	v_add_co_u32_e64 v24, s[0:1], v23, v11
	v_mov_b32_e32 v0, v16
	v_addc_co_u32_e64 v25, s[0:1], v4, v12, s[0:1]
	v_mad_u64_u32 v[16:17], s[0:1], s21, v8, v[0:1]
	v_or_b32_e32 v11, 6, v3
	v_mad_u64_u32 v[17:18], s[0:1], s20, v11, 0
	v_lshlrev_b64 v[12:13], 2, v[13:14]
	v_or_b32_e32 v9, 10, v3
	v_add_co_u32_e64 v26, s[0:1], v23, v12
	v_mov_b32_e32 v0, v18
	v_or_b32_e32 v12, 8, v3
	v_addc_co_u32_e64 v27, s[0:1], v4, v13, s[0:1]
	v_lshlrev_b64 v[13:14], 2, v[15:16]
	v_mad_u64_u32 v[15:16], s[0:1], s21, v11, v[0:1]
	v_mad_u64_u32 v[19:20], s[0:1], s20, v12, 0
	v_add_co_u32_e64 v13, s[0:1], v23, v13
	v_mov_b32_e32 v18, v15
	v_mov_b32_e32 v0, v20
	v_addc_co_u32_e64 v14, s[0:1], v4, v14, s[0:1]
	v_lshlrev_b64 v[15:16], 2, v[17:18]
	v_mad_u64_u32 v[17:18], s[0:1], s21, v12, v[0:1]
	v_mad_u64_u32 v[21:22], s[0:1], s20, v9, 0
	v_add_co_u32_e64 v28, s[0:1], v23, v15
	v_mov_b32_e32 v20, v17
	v_mov_b32_e32 v0, v22
	v_addc_co_u32_e64 v29, s[0:1], v4, v16, s[0:1]
	v_lshlrev_b64 v[15:16], 2, v[19:20]
	v_mad_u64_u32 v[17:18], s[0:1], s21, v9, v[0:1]
	v_or_b32_e32 v20, 12, v3
	v_mad_u64_u32 v[18:19], s[0:1], s20, v20, 0
	v_add_co_u32_e64 v30, s[0:1], v23, v15
	v_mov_b32_e32 v0, v19
	v_addc_co_u32_e64 v31, s[0:1], v4, v16, s[0:1]
	v_mov_b32_e32 v22, v17
	v_mad_u64_u32 v[19:20], s[0:1], s21, v20, v[0:1]
	v_or_b32_e32 v17, 14, v3
	v_lshlrev_b64 v[15:16], 2, v[21:22]
	v_mad_u64_u32 v[20:21], s[0:1], s20, v17, 0
	v_add_co_u32_e64 v32, s[0:1], v23, v15
	v_mov_b32_e32 v0, v21
	v_addc_co_u32_e64 v33, s[0:1], v4, v16, s[0:1]
	v_lshlrev_b64 v[15:16], 2, v[18:19]
	v_mad_u64_u32 v[17:18], s[0:1], s21, v17, v[0:1]
	v_or_b32_e32 v22, 16, v3
	v_mad_u64_u32 v[18:19], s[0:1], s20, v22, 0
	v_add_co_u32_e64 v34, s[0:1], v23, v15
	v_mov_b32_e32 v21, v17
	v_mov_b32_e32 v0, v19
	v_addc_co_u32_e64 v35, s[0:1], v4, v16, s[0:1]
	v_lshlrev_b64 v[15:16], 2, v[20:21]
	v_mad_u64_u32 v[19:20], s[0:1], s21, v22, v[0:1]
	v_or_b32_e32 v17, 18, v3
	v_mad_u64_u32 v[20:21], s[0:1], s20, v17, 0
	v_add_co_u32_e64 v36, s[0:1], v23, v15
	v_mov_b32_e32 v0, v21
	v_addc_co_u32_e64 v37, s[0:1], v4, v16, s[0:1]
	v_lshlrev_b64 v[15:16], 2, v[18:19]
	v_mad_u64_u32 v[17:18], s[0:1], s21, v17, v[0:1]
	v_or_b32_e32 v22, 20, v3
	v_mad_u64_u32 v[18:19], s[0:1], s20, v22, 0
	v_add_co_u32_e64 v38, s[0:1], v23, v15
	v_mov_b32_e32 v21, v17
	v_mov_b32_e32 v0, v19
	v_addc_co_u32_e64 v39, s[0:1], v4, v16, s[0:1]
	v_lshlrev_b64 v[15:16], 2, v[20:21]
	v_mad_u64_u32 v[19:20], s[0:1], s21, v22, v[0:1]
	v_or_b32_e32 v17, 22, v3
	v_mad_u64_u32 v[20:21], s[0:1], s20, v17, 0
	v_add_co_u32_e64 v40, s[0:1], v23, v15
	v_mov_b32_e32 v0, v21
	v_addc_co_u32_e64 v41, s[0:1], v4, v16, s[0:1]
	v_lshlrev_b64 v[15:16], 2, v[18:19]
	v_mad_u64_u32 v[17:18], s[0:1], s21, v17, v[0:1]
	v_or_b32_e32 v18, 24, v3
	v_mad_u64_u32 v[42:43], s[0:1], s20, v18, 0
	v_add_co_u32_e64 v44, s[0:1], v23, v15
	v_mov_b32_e32 v0, v43
	v_addc_co_u32_e64 v45, s[0:1], v4, v16, s[0:1]
	v_mov_b32_e32 v21, v17
	v_mad_u64_u32 v[17:18], s[0:1], s21, v18, v[0:1]
	v_lshlrev_b64 v[15:16], 2, v[20:21]
	v_mov_b32_e32 v43, v17
	v_add_co_u32_e64 v46, s[0:1], v23, v15
	global_load_dword v15, v[26:27], off
	global_load_dword v17, v[13:14], off
	;; [unrolled: 1-line block ×7, first 2 shown]
	v_lshlrev_b64 v[13:14], 2, v[42:43]
	v_addc_co_u32_e64 v47, s[0:1], v4, v16, s[0:1]
	v_add_co_u32_e64 v13, s[0:1], v23, v13
	v_addc_co_u32_e64 v14, s[0:1], v4, v14, s[0:1]
	global_load_dword v23, v[38:39], off
	global_load_dword v26, v[40:41], off
	;; [unrolled: 1-line block ×6, first 2 shown]
	s_waitcnt vmcnt(12)
	v_lshrrev_b32_e32 v27, 16, v15
	s_waitcnt vmcnt(11)
	v_lshrrev_b32_e32 v28, 16, v17
	;; [unrolled: 2-line block ×12, first 2 shown]
.LBB0_13:
	s_or_b64 exec, exec, s[6:7]
	v_sub_f16_e32 v13, v27, v43
	s_mov_b32 s24, 0xba95b770
	v_add_f16_e32 v0, v15, v37
	v_sub_f16_e32 v16, v28, v41
	s_mov_b32 s10, 0x388b3b15
	v_pk_mul_f16 v24, v13, s24 op_sel_hi:[0,1]
	s_mov_b32 s26, 0xbb7bba95
	v_add_f16_e32 v14, v17, v34
	v_pk_fma_f16 v25, v0, s10, v24 op_sel_hi:[0,1,1]
	s_mov_b32 s11, 0xb5ac388b
	v_pk_mul_f16 v40, v16, s26 op_sel_hi:[0,1]
	s_waitcnt vmcnt(0)
	v_pk_add_f16 v25, v25, v4 op_sel_hi:[1,0]
	v_pk_fma_f16 v42, v14, s11, v40 op_sel_hi:[0,1,1]
	s_mov_b32 s28, 0xb3a8bbf1
	v_sub_f16_e32 v46, v29, v39
	v_pk_add_f16 v25, v42, v25
	s_mov_b32 s12, 0xbbc42fb7
	v_add_f16_e32 v42, v18, v30
	v_pk_mul_f16 v48, v46, s28 op_sel_hi:[0,1]
	s_mov_b32 s33, 0x394ebb7b
	v_sub_f16_e32 v47, v31, v38
	v_pk_fma_f16 v44, v42, s12, v48 op_sel_hi:[0,1,1]
	s_mov_b32 s17, 0xb9fdb5ac
	v_add_f16_e32 v49, v19, v26
	v_pk_mul_f16 v50, v47, s33 op_sel_hi:[0,1]
	s_mov_b32 s37, 0x3bf1b94e
	v_sub_f16_e32 v52, v32, v36
	v_pk_add_f16 v25, v44, v25
	v_pk_fma_f16 v44, v49, s17, v50 op_sel_hi:[0,1,1]
	s_mov_b32 s21, 0x2fb7b9fd
	v_add_f16_e32 v51, v20, v23
	v_pk_mul_f16 v53, v52, s37 op_sel_hi:[0,1]
	s_mov_b32 s30, 0xbb7bbbf1
	v_pk_add_f16 v25, v44, v25
	v_pk_fma_f16 v44, v51, s21, v53 op_sel_hi:[0,1,1]
	s_mov_b32 s13, 0xb5ac2fb7
	v_pk_mul_f16 v54, v13, s30 op_sel_hi:[0,1]
	s_mov_b32 s34, 0x394eb3a8
	v_pk_add_f16 v25, v44, v25
	v_pk_fma_f16 v44, v0, s13, v54 op_sel_hi:[0,1,1]
	s_mov_b32 s16, 0xb9fdbbc4
	v_pk_mul_f16 v55, v16, s34 op_sel_hi:[0,1]
	s_mov_b32 s36, 0x37703b7b
	v_pk_add_f16 v44, v44, v4 op_sel_hi:[1,0]
	v_pk_fma_f16 v45, v14, s16, v55 op_sel_hi:[0,1,1]
	s_mov_b32 s18, 0x3b15b5ac
	v_pk_mul_f16 v56, v46, s36 op_sel_hi:[0,1]
	s_mov_b32 s38, 0xbbf13770
	v_pk_add_f16 v44, v45, v44
	v_pk_fma_f16 v45, v42, s18, v56 op_sel_hi:[0,1,1]
	s_mov_b32 s20, 0x2fb73b15
	v_pk_mul_f16 v57, v47, s38 op_sel_hi:[0,1]
	s_mov_b32 s40, 0x33a8ba95
	v_pk_add_f16 v44, v45, v44
	v_pk_fma_f16 v45, v49, s20, v57 op_sel_hi:[0,1,1]
	s_mov_b32 s23, 0xbbc4388b
	v_pk_mul_f16 v58, v52, s40 op_sel_hi:[0,1]
	s_mov_b32 s48, 0x3770b3a8
	v_sub_f16_e32 v60, v33, v35
	v_pk_add_f16 v44, v45, v44
	v_pk_fma_f16 v45, v51, s23, v58 op_sel_hi:[0,1,1]
	s_mov_b32 s47, 0x3b15bbc4
	s_mov_b32 s43, 0x3a95b94e
	v_add_f16_e32 v59, v21, v22
	v_pk_mul_f16 v61, v60, s48 op_sel_hi:[0,1]
	s_mov_b32 s39, 0xb3a8b94e
	v_pk_add_f16 v45, v45, v44
	s_mov_b32 s29, 0x388bb9fd
	v_pk_fma_f16 v44, v59, s47, v61 op_sel_hi:[0,1,1]
	v_pk_mul_f16 v62, v60, s43 op_sel_hi:[0,1]
	s_mov_b32 s19, 0xbbc4b9fd
	v_pk_mul_f16 v13, v13, s39 op_sel_hi:[0,1]
	s_mov_b32 s41, 0x37703bf1
	v_pk_fma_f16 v63, v59, s29, v62 op_sel_hi:[0,1,1]
	v_pk_add_f16 v44, v44, v25
	v_pk_fma_f16 v25, v0, s19, v13 op_sel_hi:[0,1,1]
	s_mov_b32 s22, 0x3b152fb7
	v_pk_mul_f16 v16, v16, s41 op_sel_hi:[0,1]
	v_pk_add_f16 v45, v63, v45
	v_pk_add_f16 v25, v25, v4 op_sel_hi:[1,0]
	v_pk_fma_f16 v63, v14, s22, v16 op_sel_hi:[0,1,1]
	s_mov_b32 s42, 0xb94eba95
	v_pk_fma_f16 v13, v0, s19, v13 op_sel_hi:[0,1,1] neg_lo:[0,0,1] neg_hi:[0,0,1]
	v_pk_add_f16 v25, v63, v25
	s_mov_b32 s25, 0xb9fd388b
	v_pk_mul_f16 v63, v46, s42 op_sel_hi:[0,1]
	s_mov_b32 s44, 0x3a9533a8
	v_pk_add_f16 v13, v13, v4 op_sel_hi:[1,0]
	v_pk_fma_f16 v16, v14, s22, v16 op_sel_hi:[0,1,1] neg_lo:[0,0,1] neg_hi:[0,0,1]
	s_mov_b32 s27, 0x388bbbc4
	v_pk_mul_f16 v47, v47, s44 op_sel_hi:[0,1]
	s_mov_b32 s45, 0xbb7b3770
	v_pk_add_f16 v13, v16, v13
	v_pk_fma_f16 v16, v42, s25, v63 op_sel_hi:[0,1,1] neg_lo:[0,0,1] neg_hi:[0,0,1]
	s_mov_b32 s31, 0xb5ac3b15
	v_pk_mul_f16 v52, v52, s45 op_sel_hi:[0,1]
	s_mov_b32 s46, 0x3bf1bb7b
	v_pk_add_f16 v13, v16, v13
	v_pk_fma_f16 v16, v49, s27, v47 op_sel_hi:[0,1,1] neg_lo:[0,0,1] neg_hi:[0,0,1]
	s_mov_b32 s35, 0x2fb7b5ac
	v_pk_mul_f16 v60, v60, s46 op_sel_hi:[0,1]
	v_pk_add_f16 v13, v16, v13
	v_pk_fma_f16 v16, v51, s31, v52 op_sel_hi:[0,1,1] neg_lo:[0,0,1] neg_hi:[0,0,1]
	v_pk_add_f16 v13, v16, v13
	v_pk_fma_f16 v16, v59, s35, v60 op_sel_hi:[0,1,1] neg_lo:[0,0,1] neg_hi:[0,0,1]
	v_pk_add_f16 v13, v16, v13
	v_add_f16_e32 v16, v15, v4
	v_add_f16_e32 v16, v17, v16
	;; [unrolled: 1-line block ×9, first 2 shown]
	v_pk_fma_f16 v46, v42, s25, v63 op_sel_hi:[0,1,1]
	v_mul_u32_u24_e32 v10, 26, v10
	v_add_f16_e32 v16, v30, v16
	v_pk_add_f16 v25, v46, v25
	v_pk_fma_f16 v46, v49, s27, v47 op_sel_hi:[0,1,1]
	v_lshl_add_u32 v10, v10, 1, 0
	v_add_f16_e32 v16, v34, v16
	v_pk_add_f16 v25, v46, v25
	v_pk_fma_f16 v46, v51, s31, v52 op_sel_hi:[0,1,1]
	v_alignbit_b32 v47, v13, v13, 16
	v_mad_u32_u24 v13, v3, 26, v10
	v_add_f16_e32 v16, v37, v16
	v_pk_add_f16 v25, v46, v25
	v_pk_fma_f16 v46, v59, s35, v60 op_sel_hi:[0,1,1]
	ds_write_b16 v13, v16
	v_pk_fma_f16 v16, v0, s13, v54 op_sel_hi:[0,1,1] neg_lo:[0,0,1] neg_hi:[0,0,1]
	v_pk_fma_f16 v0, v0, s10, v24 op_sel_hi:[0,1,1] neg_lo:[0,0,1] neg_hi:[0,0,1]
	v_pk_add_f16 v46, v46, v25
	v_pk_add_f16 v16, v16, v4 op_sel_hi:[1,0]
	v_pk_fma_f16 v25, v14, s16, v55 op_sel_hi:[0,1,1] neg_lo:[0,0,1] neg_hi:[0,0,1]
	v_pk_fma_f16 v14, v14, s11, v40 op_sel_hi:[0,1,1] neg_lo:[0,0,1] neg_hi:[0,0,1]
	v_pk_add_f16 v0, v0, v4 op_sel_hi:[1,0]
	v_pk_add_f16 v16, v25, v16
	v_pk_fma_f16 v25, v42, s18, v56 op_sel_hi:[0,1,1] neg_lo:[0,0,1] neg_hi:[0,0,1]
	v_pk_add_f16 v0, v14, v0
	v_pk_fma_f16 v14, v42, s12, v48 op_sel_hi:[0,1,1] neg_lo:[0,0,1] neg_hi:[0,0,1]
	v_pk_add_f16 v16, v25, v16
	v_pk_fma_f16 v25, v49, s20, v57 op_sel_hi:[0,1,1] neg_lo:[0,0,1] neg_hi:[0,0,1]
	v_pk_add_f16 v0, v14, v0
	v_pk_fma_f16 v14, v49, s17, v50 op_sel_hi:[0,1,1] neg_lo:[0,0,1] neg_hi:[0,0,1]
	v_pk_add_f16 v16, v25, v16
	v_pk_fma_f16 v25, v51, s23, v58 op_sel_hi:[0,1,1] neg_lo:[0,0,1] neg_hi:[0,0,1]
	v_pk_add_f16 v0, v14, v0
	v_pk_fma_f16 v14, v51, s21, v53 op_sel_hi:[0,1,1] neg_lo:[0,0,1] neg_hi:[0,0,1]
	v_pk_add_f16 v16, v25, v16
	v_pk_fma_f16 v25, v59, s29, v62 op_sel_hi:[0,1,1] neg_lo:[0,0,1] neg_hi:[0,0,1]
	v_pk_add_f16 v0, v14, v0
	v_pk_fma_f16 v14, v59, s47, v61 op_sel_hi:[0,1,1] neg_lo:[0,0,1] neg_hi:[0,0,1]
	v_pk_add_f16 v16, v25, v16
	v_pk_add_f16 v0, v14, v0
	v_alignbit_b32 v24, v16, v16, 16
	v_alignbit_b32 v25, v0, v0, 16
	v_lshl_add_u32 v52, v3, 1, v10
	s_movk_i32 s0, 0xffe8
	ds_write_b128 v13, v[44:47] offset:2
	s_load_dwordx2 s[4:5], s[4:5], 0x0
	ds_write_b64 v13, v[24:25] offset:18
	s_waitcnt lgkmcnt(0)
	; wave barrier
	s_waitcnt lgkmcnt(0)
	v_mad_i32_i24 v14, v3, s0, v13
	v_lshl_add_u32 v53, v7, 1, v10
	ds_read_u16 v24, v52
	ds_read_u16 v25, v14 offset:26
	ds_read_u16 v45, v14 offset:30
	;; [unrolled: 1-line block ×6, first 2 shown]
	ds_read_u16 v40, v53
	v_lshl_add_u32 v54, v8, 1, v10
	v_lshl_add_u32 v55, v11, 1, v10
	;; [unrolled: 1-line block ×4, first 2 shown]
	ds_read_u16 v42, v54
	ds_read_u16 v44, v55
	;; [unrolled: 1-line block ×4, first 2 shown]
	v_cmp_eq_u32_e64 s[0:1], 0, v3
                                        ; implicit-def: $vgpr16
	s_and_saveexec_b64 s[6:7], s[0:1]
	s_cbranch_execz .LBB0_15
; %bb.14:
	ds_read_u16 v0, v10 offset:24
	ds_read_u16 v16, v10 offset:50
.LBB0_15:
	s_or_b64 exec, exec, s[6:7]
	v_add_f16_sdwa v58, v27, v4 dst_sel:DWORD dst_unused:UNUSED_PAD src0_sel:DWORD src1_sel:WORD_1
	v_sub_f16_e32 v15, v15, v37
	v_add_f16_e32 v58, v28, v58
	v_add_f16_e32 v27, v27, v43
	v_sub_f16_e32 v34, v17, v34
	v_pk_mul_f16 v17, v15, s24 op_sel_hi:[0,1]
	v_add_f16_e32 v58, v29, v58
	v_add_f16_e32 v28, v28, v41
	v_sub_f16_e32 v30, v18, v30
	v_sub_f16_e32 v26, v19, v26
	v_pk_fma_f16 v18, v27, s10, v17 op_sel_hi:[0,1,1] neg_lo:[0,0,1] neg_hi:[0,0,1]
	v_pk_mul_f16 v19, v34, s26 op_sel_hi:[0,1]
	v_add_f16_e32 v58, v31, v58
	v_sub_f16_e32 v21, v21, v22
	v_pk_add_f16 v18, v18, v4 op_sel:[0,1]
	v_pk_fma_f16 v22, v28, s11, v19 op_sel_hi:[0,1,1] neg_lo:[0,0,1] neg_hi:[0,0,1]
	v_add_f16_e32 v58, v32, v58
	v_add_f16_e32 v29, v29, v39
	v_pk_add_f16 v18, v22, v18
	v_pk_mul_f16 v22, v30, s28 op_sel_hi:[0,1]
	v_add_f16_e32 v58, v33, v58
	v_sub_f16_e32 v20, v20, v23
	v_add_f16_e32 v23, v33, v35
	v_pk_fma_f16 v33, v29, s12, v22 op_sel_hi:[0,1,1] neg_lo:[0,0,1] neg_hi:[0,0,1]
	v_add_f16_e32 v31, v31, v38
	v_pk_add_f16 v18, v33, v18
	v_pk_mul_f16 v33, v26, s33 op_sel_hi:[0,1]
	v_pk_fma_f16 v17, v27, s10, v17 op_sel_hi:[0,1,1]
	v_add_f16_e32 v58, v35, v58
	v_pk_fma_f16 v35, v31, s17, v33 op_sel_hi:[0,1,1] neg_lo:[0,0,1] neg_hi:[0,0,1]
	v_pk_add_f16 v17, v17, v4 op_sel:[0,1]
	v_pk_fma_f16 v19, v28, s11, v19 op_sel_hi:[0,1,1]
	v_add_f16_e32 v32, v32, v36
	v_pk_add_f16 v18, v35, v18
	v_pk_mul_f16 v35, v20, s37 op_sel_hi:[0,1]
	v_pk_add_f16 v17, v19, v17
	v_pk_fma_f16 v19, v29, s12, v22 op_sel_hi:[0,1,1]
	v_add_f16_e32 v58, v36, v58
	v_pk_fma_f16 v36, v32, s21, v35 op_sel_hi:[0,1,1] neg_lo:[0,0,1] neg_hi:[0,0,1]
	v_pk_add_f16 v17, v19, v17
	v_pk_fma_f16 v19, v31, s17, v33 op_sel_hi:[0,1,1]
	v_pk_add_f16 v18, v36, v18
	v_pk_mul_f16 v36, v21, s48 op_sel_hi:[0,1]
	v_pk_add_f16 v17, v19, v17
	v_pk_fma_f16 v19, v32, s21, v35 op_sel_hi:[0,1,1]
	v_pk_add_f16 v17, v19, v17
	v_pk_fma_f16 v19, v23, s47, v36 op_sel_hi:[0,1,1]
	v_pk_mul_f16 v22, v15, s30 op_sel_hi:[0,1]
	v_pk_add_f16 v17, v19, v17
	v_pk_fma_f16 v19, v27, s13, v22 op_sel_hi:[0,1,1] neg_lo:[0,0,1] neg_hi:[0,0,1]
	v_pk_mul_f16 v33, v34, s34 op_sel_hi:[0,1]
	v_pk_add_f16 v19, v19, v4 op_sel:[0,1]
	v_pk_fma_f16 v35, v28, s16, v33 op_sel_hi:[0,1,1] neg_lo:[0,0,1] neg_hi:[0,0,1]
	v_pk_add_f16 v19, v35, v19
	v_pk_mul_f16 v35, v30, s36 op_sel_hi:[0,1]
	v_pk_fma_f16 v37, v23, s47, v36 op_sel_hi:[0,1,1] neg_lo:[0,0,1] neg_hi:[0,0,1]
	v_pk_fma_f16 v36, v29, s18, v35 op_sel_hi:[0,1,1] neg_lo:[0,0,1] neg_hi:[0,0,1]
	v_pk_add_f16 v19, v36, v19
	v_pk_mul_f16 v36, v26, s38 op_sel_hi:[0,1]
	v_pk_fma_f16 v22, v27, s13, v22 op_sel_hi:[0,1,1]
	v_pk_add_f16 v18, v37, v18
	v_pk_fma_f16 v37, v31, s20, v36 op_sel_hi:[0,1,1] neg_lo:[0,0,1] neg_hi:[0,0,1]
	v_pk_add_f16 v22, v22, v4 op_sel:[0,1]
	v_pk_fma_f16 v33, v28, s16, v33 op_sel_hi:[0,1,1]
	v_pk_add_f16 v19, v37, v19
	v_pk_mul_f16 v37, v20, s40 op_sel_hi:[0,1]
	v_pk_add_f16 v22, v33, v22
	v_pk_fma_f16 v33, v29, s18, v35 op_sel_hi:[0,1,1]
	v_add_f16_e32 v58, v38, v58
	v_pk_fma_f16 v38, v32, s23, v37 op_sel_hi:[0,1,1] neg_lo:[0,0,1] neg_hi:[0,0,1]
	v_pk_add_f16 v22, v33, v22
	v_pk_fma_f16 v33, v31, s20, v36 op_sel_hi:[0,1,1]
	v_pk_add_f16 v19, v38, v19
	v_pk_mul_f16 v38, v21, s43 op_sel_hi:[0,1]
	v_pk_add_f16 v22, v33, v22
	v_pk_fma_f16 v33, v32, s23, v37 op_sel_hi:[0,1,1]
	v_pk_add_f16 v22, v33, v22
	v_pk_fma_f16 v33, v23, s29, v38 op_sel_hi:[0,1,1]
	v_pk_mul_f16 v15, v15, s39 op_sel_hi:[0,1]
	v_pk_add_f16 v22, v33, v22
	v_pk_fma_f16 v33, v27, s19, v15 op_sel_hi:[0,1,1] neg_lo:[0,0,1] neg_hi:[0,0,1]
	v_pk_mul_f16 v34, v34, s41 op_sel_hi:[0,1]
	v_pk_add_f16 v33, v33, v4 op_sel:[0,1]
	v_pk_fma_f16 v35, v28, s22, v34 op_sel_hi:[0,1,1] neg_lo:[0,0,1] neg_hi:[0,0,1]
	v_pk_mul_f16 v30, v30, s42 op_sel_hi:[0,1]
	v_pk_fma_f16 v15, v27, s19, v15 op_sel_hi:[0,1,1]
	v_pk_add_f16 v33, v35, v33
	v_pk_fma_f16 v35, v29, s25, v30 op_sel_hi:[0,1,1] neg_lo:[0,0,1] neg_hi:[0,0,1]
	v_pk_mul_f16 v26, v26, s44 op_sel_hi:[0,1]
	v_pk_add_f16 v4, v15, v4 op_sel:[0,1]
	v_pk_fma_f16 v15, v28, s22, v34 op_sel_hi:[0,1,1]
	v_pk_add_f16 v33, v35, v33
	v_pk_fma_f16 v35, v31, s27, v26 op_sel_hi:[0,1,1] neg_lo:[0,0,1] neg_hi:[0,0,1]
	v_pk_add_f16 v4, v15, v4
	v_pk_fma_f16 v15, v29, s25, v30 op_sel_hi:[0,1,1]
	v_pk_add_f16 v33, v35, v33
	v_pk_mul_f16 v35, v20, s45 op_sel_hi:[0,1]
	v_pk_add_f16 v4, v15, v4
	v_pk_fma_f16 v15, v31, s27, v26 op_sel_hi:[0,1,1]
	v_pk_mul_f16 v21, v21, s46 op_sel_hi:[0,1]
	v_pk_add_f16 v4, v15, v4
	v_pk_fma_f16 v15, v32, s31, v35 op_sel_hi:[0,1,1]
	v_pk_fma_f16 v20, v32, s31, v35 op_sel_hi:[0,1,1] neg_lo:[0,0,1] neg_hi:[0,0,1]
	v_pk_add_f16 v4, v15, v4
	v_pk_fma_f16 v15, v23, s35, v21 op_sel_hi:[0,1,1]
	v_add_f16_e32 v58, v39, v58
	v_pk_fma_f16 v39, v23, s29, v38 op_sel_hi:[0,1,1] neg_lo:[0,0,1] neg_hi:[0,0,1]
	v_pk_add_f16 v20, v20, v33
	v_pk_fma_f16 v33, v23, s35, v21 op_sel_hi:[0,1,1] neg_lo:[0,0,1] neg_hi:[0,0,1]
	v_pk_add_f16 v4, v15, v4
	v_add_f16_e32 v58, v41, v58
	v_pk_add_f16 v19, v39, v19
	v_pk_add_f16 v20, v33, v20
	v_alignbit_b32 v21, v4, v4, 16
	v_add_f16_e32 v58, v43, v58
	s_waitcnt lgkmcnt(0)
	; wave barrier
	s_waitcnt lgkmcnt(0)
	ds_write_b128 v13, v[18:21] offset:2
	v_alignbit_b32 v18, v22, v22, 16
	v_alignbit_b32 v19, v17, v17, 16
	ds_write_b16 v13, v58
	ds_write_b64 v13, v[18:19] offset:18
	s_waitcnt lgkmcnt(0)
	; wave barrier
	s_waitcnt lgkmcnt(0)
	ds_read_u16 v19, v52
	ds_read_u16 v20, v14 offset:26
	ds_read_u16 v21, v14 offset:30
	;; [unrolled: 1-line block ×6, first 2 shown]
	ds_read_u16 v22, v53
	ds_read_u16 v23, v54
	;; [unrolled: 1-line block ×5, first 2 shown]
	v_mov_b32_e32 v14, 0
	v_mov_b32_e32 v15, 0
                                        ; implicit-def: $vgpr18
	s_and_saveexec_b64 s[6:7], s[0:1]
	s_cbranch_execz .LBB0_17
; %bb.16:
	ds_read_u16 v17, v10 offset:24
	ds_read_u16 v18, v10 offset:50
	v_mov_b32_e32 v14, 12
	v_mov_b32_e32 v15, 0
.LBB0_17:
	s_or_b64 exec, exec, s[6:7]
	s_and_saveexec_b64 s[0:1], vcc
	s_cbranch_execz .LBB0_20
; %bb.18:
	v_mov_b32_e32 v10, 0
	v_lshlrev_b64 v[33:34], 2, v[9:10]
	v_mov_b32_e32 v13, v10
	v_mov_b32_e32 v15, s9
	v_add_co_u32_e32 v33, vcc, s8, v33
	v_lshlrev_b64 v[12:13], 2, v[12:13]
	v_addc_co_u32_e32 v34, vcc, v15, v34, vcc
	v_add_co_u32_e32 v35, vcc, s8, v12
	v_mov_b32_e32 v12, v10
	v_lshlrev_b64 v[11:12], 2, v[11:12]
	v_addc_co_u32_e32 v36, vcc, v15, v13, vcc
	v_mov_b32_e32 v9, v10
	v_add_co_u32_e32 v11, vcc, s8, v11
	v_lshlrev_b64 v[8:9], 2, v[8:9]
	v_addc_co_u32_e32 v12, vcc, v15, v12, vcc
	v_add_co_u32_e32 v8, vcc, s8, v8
	v_addc_co_u32_e32 v9, vcc, v15, v9, vcc
	global_load_dword v13, v[33:34], off
	global_load_dword v37, v[35:36], off
	;; [unrolled: 1-line block ×4, first 2 shown]
	v_mov_b32_e32 v8, v10
	v_lshlrev_b64 v[7:8], 2, v[7:8]
	v_mov_b32_e32 v4, v10
	v_add_co_u32_e32 v7, vcc, s8, v7
	v_addc_co_u32_e32 v8, vcc, v15, v8, vcc
	global_load_dword v9, v[7:8], off
	v_lshlrev_b64 v[7:8], 2, v[3:4]
	v_mul_lo_u32 v6, s4, v6
	v_add_co_u32_e32 v7, vcc, s8, v7
	v_addc_co_u32_e32 v8, vcc, v15, v8, vcc
	global_load_dword v10, v[7:8], off
	v_mul_lo_u32 v7, s5, v5
	v_mad_u64_u32 v[4:5], s[0:1], s4, v5, 0
	s_mov_b32 s0, 0x4ec4ec4f
	v_lshlrev_b64 v[1:2], 2, v[1:2]
	v_add3_u32 v5, v5, v6, v7
	v_lshlrev_b64 v[4:5], 2, v[4:5]
	v_add_co_u32_e32 v4, vcc, s14, v4
	s_waitcnt vmcnt(5)
	v_lshrrev_b32_e32 v6, 16, v13
	v_mul_f16_e32 v7, v51, v13
	s_waitcnt lgkmcnt(5)
	v_fma_f16 v7, v32, v6, v7
	v_mul_f16_e32 v6, v51, v6
	s_waitcnt vmcnt(4)
	v_lshrrev_b32_e32 v8, 16, v37
	v_mul_f16_e32 v11, v49, v37
	s_waitcnt vmcnt(3)
	v_lshrrev_b32_e32 v12, 16, v38
	v_mul_f16_e32 v15, v48, v38
	s_waitcnt vmcnt(2)
	v_lshrrev_b32_e32 v33, 16, v39
	v_mul_f16_e32 v34, v47, v39
	v_sub_f16_e32 v41, v50, v7
	s_waitcnt vmcnt(1)
	v_lshrrev_b32_e32 v35, 16, v9
	v_mul_f16_e32 v36, v45, v9
	v_fma_f16 v6, v32, v13, -v6
	v_fma_f16 v7, v30, v8, v11
	v_mul_f16_e32 v8, v49, v8
	v_fma_f16 v11, v29, v12, v15
	v_mul_f16_e32 v12, v48, v12
	;; [unrolled: 2-line block ×4, first 2 shown]
	s_waitcnt lgkmcnt(0)
	v_sub_f16_e32 v35, v31, v6
	v_fma_f16 v6, v30, v37, -v8
	v_sub_f16_e32 v36, v46, v7
	v_fma_f16 v7, v29, v38, -v12
	v_sub_f16_e32 v29, v27, v6
	v_mul_hi_u32 v6, v3, s0
	v_sub_f16_e32 v12, v42, v13
	v_fma_f16 v8, v28, v39, -v15
	v_sub_f16_e32 v13, v40, v32
	v_lshrrev_b32_e32 v6, 2, v6
	v_mul_lo_u32 v6, v6, 13
	v_sub_f16_e32 v32, v26, v7
	v_fma_f16 v7, v21, v9, -v33
	v_sub_f16_e32 v30, v44, v11
	v_sub_f16_e32 v38, v23, v8
	;; [unrolled: 1-line block ×3, first 2 shown]
	s_waitcnt vmcnt(0)
	v_lshrrev_b32_e32 v8, 16, v10
	v_mul_f16_e32 v7, v25, v10
	v_sub_u32_e32 v11, v3, v6
	v_fma_f16 v9, v20, v8, v7
	v_mad_u64_u32 v[6:7], s[4:5], s2, v11, 0
	v_sub_f16_e32 v33, v24, v9
	v_fma_f16 v9, v24, 2.0, -v33
	v_mul_f16_e32 v24, v25, v8
	v_mad_u64_u32 v[7:8], s[4:5], s3, v11, v[7:8]
	v_fma_f16 v8, v20, v10, -v24
	v_mov_b32_e32 v10, s15
	v_sub_f16_e32 v20, v19, v8
	v_addc_co_u32_e32 v5, vcc, v10, v5, vcc
	v_add_u32_e32 v10, 2, v3
	v_fma_f16 v8, v19, 2.0, -v20
	v_mul_hi_u32 v19, v10, s0
	v_add_co_u32_e32 v1, vcc, v4, v1
	v_add_u32_e32 v11, 13, v11
	v_lshrrev_b32_e32 v19, 2, v19
	v_mul_lo_u32 v24, v19, 13
	v_pack_b32_f16 v25, v9, v8
	v_addc_co_u32_e32 v2, vcc, v5, v2, vcc
	v_sub_u32_e32 v8, v10, v24
	v_lshlrev_b64 v[4:5], 2, v[6:7]
	v_mad_u64_u32 v[6:7], s[4:5], s2, v11, 0
	v_mad_u64_u32 v[8:9], s[4:5], v19, 26, v[8:9]
	v_add_co_u32_e32 v4, vcc, v1, v4
	v_mad_u64_u32 v[9:10], s[4:5], s3, v11, v[7:8]
	v_mad_u64_u32 v[10:11], s[4:5], s2, v8, 0
	v_addc_co_u32_e32 v5, vcc, v2, v5, vcc
	v_mov_b32_e32 v7, v9
	global_store_dword v[4:5], v25, off
	v_lshlrev_b64 v[4:5], 2, v[6:7]
	v_mov_b32_e32 v6, v11
	v_mad_u64_u32 v[6:7], s[4:5], s3, v8, v[6:7]
	v_add_co_u32_e32 v4, vcc, v1, v4
	v_addc_co_u32_e32 v5, vcc, v2, v5, vcc
	v_pack_b32_f16 v7, v33, v20
	v_mov_b32_e32 v11, v6
	v_add_u32_e32 v9, 4, v3
	global_store_dword v[4:5], v7, off
	v_lshlrev_b64 v[4:5], 2, v[10:11]
	v_mul_hi_u32 v10, v9, s0
	v_add_u32_e32 v11, 13, v8
	v_mad_u64_u32 v[6:7], s[4:5], s2, v11, 0
	v_lshrrev_b32_e32 v10, 2, v10
	v_mul_lo_u32 v8, v10, 13
	v_fma_f16 v39, v40, 2.0, -v13
	v_fma_f16 v22, v22, 2.0, -v21
	v_add_co_u32_e32 v4, vcc, v1, v4
	v_sub_u32_e32 v8, v9, v8
	v_mad_u64_u32 v[8:9], s[4:5], v10, 26, v[8:9]
	v_addc_co_u32_e32 v5, vcc, v2, v5, vcc
	v_mad_u64_u32 v[9:10], s[4:5], s3, v11, v[7:8]
	v_mad_u64_u32 v[10:11], s[4:5], s2, v8, 0
	v_pack_b32_f16 v19, v39, v22
	v_mov_b32_e32 v7, v9
	global_store_dword v[4:5], v19, off
	v_lshlrev_b64 v[4:5], 2, v[6:7]
	v_mov_b32_e32 v6, v11
	v_mad_u64_u32 v[6:7], s[4:5], s3, v8, v[6:7]
	v_add_co_u32_e32 v4, vcc, v1, v4
	v_addc_co_u32_e32 v5, vcc, v2, v5, vcc
	v_pack_b32_f16 v7, v13, v21
	v_mov_b32_e32 v11, v6
	v_add_u32_e32 v9, 6, v3
	global_store_dword v[4:5], v7, off
	v_lshlrev_b64 v[4:5], 2, v[10:11]
	v_mul_hi_u32 v10, v9, s0
	v_add_u32_e32 v11, 13, v8
	v_mad_u64_u32 v[6:7], s[4:5], s2, v11, 0
	v_lshrrev_b32_e32 v10, 2, v10
	v_mul_lo_u32 v8, v10, 13
	v_fma_f16 v37, v42, 2.0, -v12
	v_fma_f16 v23, v23, 2.0, -v38
	v_add_co_u32_e32 v4, vcc, v1, v4
	v_sub_u32_e32 v8, v9, v8
	v_mad_u64_u32 v[8:9], s[4:5], v10, 26, v[8:9]
	v_addc_co_u32_e32 v5, vcc, v2, v5, vcc
	v_mad_u64_u32 v[9:10], s[4:5], s3, v11, v[7:8]
	v_mad_u64_u32 v[10:11], s[4:5], s2, v8, 0
	v_pack_b32_f16 v13, v37, v23
	v_mov_b32_e32 v7, v9
	global_store_dword v[4:5], v13, off
	v_lshlrev_b64 v[4:5], 2, v[6:7]
	v_mov_b32_e32 v6, v11
	v_mad_u64_u32 v[6:7], s[4:5], s3, v8, v[6:7]
	v_add_co_u32_e32 v4, vcc, v1, v4
	v_addc_co_u32_e32 v5, vcc, v2, v5, vcc
	v_pack_b32_f16 v7, v12, v38
	v_mov_b32_e32 v11, v6
	v_add_u32_e32 v9, 8, v3
	global_store_dword v[4:5], v7, off
	v_lshlrev_b64 v[4:5], 2, v[10:11]
	v_mul_hi_u32 v10, v9, s0
	v_add_u32_e32 v11, 13, v8
	v_mad_u64_u32 v[6:7], s[4:5], s2, v11, 0
	v_lshrrev_b32_e32 v10, 2, v10
	v_mul_lo_u32 v8, v10, 13
	v_fma_f16 v15, v31, 2.0, -v35
	v_fma_f16 v31, v44, 2.0, -v30
	;; [unrolled: 1-line block ×3, first 2 shown]
	v_sub_u32_e32 v8, v9, v8
	v_mad_u64_u32 v[8:9], s[4:5], v10, 26, v[8:9]
	v_add_co_u32_e32 v4, vcc, v1, v4
	v_mad_u64_u32 v[9:10], s[4:5], s3, v11, v[7:8]
	v_mad_u64_u32 v[10:11], s[4:5], s2, v8, 0
	v_addc_co_u32_e32 v5, vcc, v2, v5, vcc
	v_pack_b32_f16 v12, v31, v26
	v_mov_b32_e32 v7, v9
	global_store_dword v[4:5], v12, off
	v_lshlrev_b64 v[4:5], 2, v[6:7]
	v_mov_b32_e32 v6, v11
	v_mad_u64_u32 v[6:7], s[4:5], s3, v8, v[6:7]
	v_add_co_u32_e32 v4, vcc, v1, v4
	v_addc_co_u32_e32 v5, vcc, v2, v5, vcc
	v_pack_b32_f16 v7, v30, v32
	v_mov_b32_e32 v11, v6
	global_store_dword v[4:5], v7, off
	v_lshlrev_b64 v[4:5], 2, v[10:11]
	v_add_u32_e32 v10, 10, v3
	v_mul_hi_u32 v11, v10, s0
	v_fma_f16 v28, v46, 2.0, -v36
	v_fma_f16 v27, v27, 2.0, -v29
	v_add_co_u32_e32 v4, vcc, v1, v4
	v_add_u32_e32 v8, 13, v8
	v_addc_co_u32_e32 v5, vcc, v2, v5, vcc
	v_pack_b32_f16 v9, v28, v27
	v_mad_u64_u32 v[6:7], s[0:1], s2, v8, 0
	global_store_dword v[4:5], v9, off
	v_lshrrev_b32_e32 v9, 2, v11
	v_mul_lo_u32 v11, v9, 13
	v_mov_b32_e32 v4, v7
	v_mad_u64_u32 v[4:5], s[0:1], s3, v8, v[4:5]
	v_sub_u32_e32 v5, v10, v11
	v_mad_u64_u32 v[8:9], s[0:1], v9, 26, v[5:6]
	v_mov_b32_e32 v7, v4
	v_lshlrev_b64 v[4:5], 2, v[6:7]
	v_mad_u64_u32 v[6:7], s[0:1], s2, v8, 0
	v_add_co_u32_e32 v4, vcc, v1, v4
	v_mad_u64_u32 v[9:10], s[0:1], s3, v8, v[7:8]
	v_add_u32_e32 v8, 13, v8
	v_mad_u64_u32 v[10:11], s[0:1], s2, v8, 0
	v_addc_co_u32_e32 v5, vcc, v2, v5, vcc
	v_pack_b32_f16 v12, v36, v29
	v_mov_b32_e32 v7, v9
	global_store_dword v[4:5], v12, off
	v_lshlrev_b64 v[4:5], 2, v[6:7]
	v_mov_b32_e32 v6, v11
	v_mad_u64_u32 v[6:7], s[0:1], s3, v8, v[6:7]
	v_fma_f16 v34, v50, 2.0, -v41
	v_add_co_u32_e32 v4, vcc, v1, v4
	v_addc_co_u32_e32 v5, vcc, v2, v5, vcc
	v_pack_b32_f16 v7, v34, v15
	v_mov_b32_e32 v11, v6
	global_store_dword v[4:5], v7, off
	v_lshlrev_b64 v[4:5], 2, v[10:11]
	v_pack_b32_f16 v6, v41, v35
	v_add_co_u32_e32 v4, vcc, v1, v4
	v_addc_co_u32_e32 v5, vcc, v2, v5, vcc
	global_store_dword v[4:5], v6, off
	v_add_u32_e32 v4, 12, v3
	v_cmp_gt_u32_e32 vcc, 13, v4
	s_and_b64 exec, exec, vcc
	s_cbranch_execz .LBB0_20
; %bb.19:
	v_lshlrev_b32_e32 v5, 2, v14
	global_load_dword v10, v5, s[8:9]
	v_mad_u64_u32 v[5:6], s[0:1], s2, v4, 0
	v_add_u32_e32 v9, 25, v3
	v_mad_u64_u32 v[7:8], s[0:1], s2, v9, 0
	v_mov_b32_e32 v3, v6
	v_mad_u64_u32 v[3:4], s[0:1], s3, v4, v[3:4]
	v_mov_b32_e32 v4, v8
	;; [unrolled: 2-line block ×3, first 2 shown]
	v_lshlrev_b64 v[3:4], 2, v[5:6]
	v_lshlrev_b64 v[5:6], 2, v[7:8]
	v_add_co_u32_e32 v3, vcc, v1, v3
	v_addc_co_u32_e32 v4, vcc, v2, v4, vcc
	v_add_co_u32_e32 v1, vcc, v1, v5
	v_addc_co_u32_e32 v2, vcc, v2, v6, vcc
	s_waitcnt vmcnt(0)
	v_mul_f16_sdwa v5, v18, v10 dst_sel:DWORD dst_unused:UNUSED_PAD src0_sel:DWORD src1_sel:WORD_1
	v_mul_f16_sdwa v6, v16, v10 dst_sel:DWORD dst_unused:UNUSED_PAD src0_sel:DWORD src1_sel:WORD_1
	v_fma_f16 v5, v16, v10, v5
	v_fma_f16 v6, v18, v10, -v6
	v_sub_f16_e32 v5, v0, v5
	v_sub_f16_e32 v6, v17, v6
	v_fma_f16 v0, v0, 2.0, -v5
	v_fma_f16 v7, v17, 2.0, -v6
	v_pack_b32_f16 v0, v0, v7
	v_pack_b32_f16 v5, v5, v6
	global_store_dword v[3:4], v0, off
	global_store_dword v[1:2], v5, off
.LBB0_20:
	s_endpgm
	.section	.rodata,"a",@progbits
	.p2align	6, 0x0
	.amdhsa_kernel fft_rtc_back_len26_factors_13_2_wgs_64_tpt_2_halfLds_half_op_CI_CI_sbrr_dirReg
		.amdhsa_group_segment_fixed_size 0
		.amdhsa_private_segment_fixed_size 0
		.amdhsa_kernarg_size 104
		.amdhsa_user_sgpr_count 6
		.amdhsa_user_sgpr_private_segment_buffer 1
		.amdhsa_user_sgpr_dispatch_ptr 0
		.amdhsa_user_sgpr_queue_ptr 0
		.amdhsa_user_sgpr_kernarg_segment_ptr 1
		.amdhsa_user_sgpr_dispatch_id 0
		.amdhsa_user_sgpr_flat_scratch_init 0
		.amdhsa_user_sgpr_private_segment_size 0
		.amdhsa_uses_dynamic_stack 0
		.amdhsa_system_sgpr_private_segment_wavefront_offset 0
		.amdhsa_system_sgpr_workgroup_id_x 1
		.amdhsa_system_sgpr_workgroup_id_y 0
		.amdhsa_system_sgpr_workgroup_id_z 0
		.amdhsa_system_sgpr_workgroup_info 0
		.amdhsa_system_vgpr_workitem_id 0
		.amdhsa_next_free_vgpr 64
		.amdhsa_next_free_sgpr 49
		.amdhsa_reserve_vcc 1
		.amdhsa_reserve_flat_scratch 0
		.amdhsa_float_round_mode_32 0
		.amdhsa_float_round_mode_16_64 0
		.amdhsa_float_denorm_mode_32 3
		.amdhsa_float_denorm_mode_16_64 3
		.amdhsa_dx10_clamp 1
		.amdhsa_ieee_mode 1
		.amdhsa_fp16_overflow 0
		.amdhsa_exception_fp_ieee_invalid_op 0
		.amdhsa_exception_fp_denorm_src 0
		.amdhsa_exception_fp_ieee_div_zero 0
		.amdhsa_exception_fp_ieee_overflow 0
		.amdhsa_exception_fp_ieee_underflow 0
		.amdhsa_exception_fp_ieee_inexact 0
		.amdhsa_exception_int_div_zero 0
	.end_amdhsa_kernel
	.text
.Lfunc_end0:
	.size	fft_rtc_back_len26_factors_13_2_wgs_64_tpt_2_halfLds_half_op_CI_CI_sbrr_dirReg, .Lfunc_end0-fft_rtc_back_len26_factors_13_2_wgs_64_tpt_2_halfLds_half_op_CI_CI_sbrr_dirReg
                                        ; -- End function
	.section	.AMDGPU.csdata,"",@progbits
; Kernel info:
; codeLenInByte = 6224
; NumSgprs: 53
; NumVgprs: 64
; ScratchSize: 0
; MemoryBound: 0
; FloatMode: 240
; IeeeMode: 1
; LDSByteSize: 0 bytes/workgroup (compile time only)
; SGPRBlocks: 6
; VGPRBlocks: 15
; NumSGPRsForWavesPerEU: 53
; NumVGPRsForWavesPerEU: 64
; Occupancy: 4
; WaveLimiterHint : 1
; COMPUTE_PGM_RSRC2:SCRATCH_EN: 0
; COMPUTE_PGM_RSRC2:USER_SGPR: 6
; COMPUTE_PGM_RSRC2:TRAP_HANDLER: 0
; COMPUTE_PGM_RSRC2:TGID_X_EN: 1
; COMPUTE_PGM_RSRC2:TGID_Y_EN: 0
; COMPUTE_PGM_RSRC2:TGID_Z_EN: 0
; COMPUTE_PGM_RSRC2:TIDIG_COMP_CNT: 0
	.type	__hip_cuid_e43bf677f4877f2a,@object ; @__hip_cuid_e43bf677f4877f2a
	.section	.bss,"aw",@nobits
	.globl	__hip_cuid_e43bf677f4877f2a
__hip_cuid_e43bf677f4877f2a:
	.byte	0                               ; 0x0
	.size	__hip_cuid_e43bf677f4877f2a, 1

	.ident	"AMD clang version 19.0.0git (https://github.com/RadeonOpenCompute/llvm-project roc-6.4.0 25133 c7fe45cf4b819c5991fe208aaa96edf142730f1d)"
	.section	".note.GNU-stack","",@progbits
	.addrsig
	.addrsig_sym __hip_cuid_e43bf677f4877f2a
	.amdgpu_metadata
---
amdhsa.kernels:
  - .args:
      - .actual_access:  read_only
        .address_space:  global
        .offset:         0
        .size:           8
        .value_kind:     global_buffer
      - .offset:         8
        .size:           8
        .value_kind:     by_value
      - .actual_access:  read_only
        .address_space:  global
        .offset:         16
        .size:           8
        .value_kind:     global_buffer
      - .actual_access:  read_only
        .address_space:  global
        .offset:         24
        .size:           8
        .value_kind:     global_buffer
      - .actual_access:  read_only
        .address_space:  global
        .offset:         32
        .size:           8
        .value_kind:     global_buffer
      - .offset:         40
        .size:           8
        .value_kind:     by_value
      - .actual_access:  read_only
        .address_space:  global
        .offset:         48
        .size:           8
        .value_kind:     global_buffer
      - .actual_access:  read_only
        .address_space:  global
        .offset:         56
        .size:           8
        .value_kind:     global_buffer
      - .offset:         64
        .size:           4
        .value_kind:     by_value
      - .actual_access:  read_only
        .address_space:  global
        .offset:         72
        .size:           8
        .value_kind:     global_buffer
      - .actual_access:  read_only
        .address_space:  global
        .offset:         80
        .size:           8
        .value_kind:     global_buffer
      - .actual_access:  read_only
        .address_space:  global
        .offset:         88
        .size:           8
        .value_kind:     global_buffer
      - .actual_access:  write_only
        .address_space:  global
        .offset:         96
        .size:           8
        .value_kind:     global_buffer
    .group_segment_fixed_size: 0
    .kernarg_segment_align: 8
    .kernarg_segment_size: 104
    .language:       OpenCL C
    .language_version:
      - 2
      - 0
    .max_flat_workgroup_size: 64
    .name:           fft_rtc_back_len26_factors_13_2_wgs_64_tpt_2_halfLds_half_op_CI_CI_sbrr_dirReg
    .private_segment_fixed_size: 0
    .sgpr_count:     53
    .sgpr_spill_count: 0
    .symbol:         fft_rtc_back_len26_factors_13_2_wgs_64_tpt_2_halfLds_half_op_CI_CI_sbrr_dirReg.kd
    .uniform_work_group_size: 1
    .uses_dynamic_stack: false
    .vgpr_count:     64
    .vgpr_spill_count: 0
    .wavefront_size: 64
amdhsa.target:   amdgcn-amd-amdhsa--gfx906
amdhsa.version:
  - 1
  - 2
...

	.end_amdgpu_metadata
